;; amdgpu-corpus repo=ROCm/rocFFT kind=compiled arch=gfx906 opt=O3
	.text
	.amdgcn_target "amdgcn-amd-amdhsa--gfx906"
	.amdhsa_code_object_version 6
	.protected	fft_rtc_back_len1452_factors_11_3_11_4_wgs_132_tpt_132_halfLds_half_ip_CI_unitstride_sbrr_R2C_dirReg ; -- Begin function fft_rtc_back_len1452_factors_11_3_11_4_wgs_132_tpt_132_halfLds_half_ip_CI_unitstride_sbrr_R2C_dirReg
	.globl	fft_rtc_back_len1452_factors_11_3_11_4_wgs_132_tpt_132_halfLds_half_ip_CI_unitstride_sbrr_R2C_dirReg
	.p2align	8
	.type	fft_rtc_back_len1452_factors_11_3_11_4_wgs_132_tpt_132_halfLds_half_ip_CI_unitstride_sbrr_R2C_dirReg,@function
fft_rtc_back_len1452_factors_11_3_11_4_wgs_132_tpt_132_halfLds_half_ip_CI_unitstride_sbrr_R2C_dirReg: ; @fft_rtc_back_len1452_factors_11_3_11_4_wgs_132_tpt_132_halfLds_half_ip_CI_unitstride_sbrr_R2C_dirReg
; %bb.0:
	s_load_dwordx2 s[12:13], s[4:5], 0x50
	s_load_dwordx4 s[8:11], s[4:5], 0x0
	s_load_dwordx2 s[2:3], s[4:5], 0x18
	v_mul_u32_u24_e32 v1, 0x1f1, v0
	v_add_u32_sdwa v5, s6, v1 dst_sel:DWORD dst_unused:UNUSED_PAD src0_sel:DWORD src1_sel:WORD_1
	v_mov_b32_e32 v3, 0
	s_waitcnt lgkmcnt(0)
	v_cmp_lt_u64_e64 s[0:1], s[10:11], 2
	v_mov_b32_e32 v1, 0
	v_mov_b32_e32 v6, v3
	s_and_b64 vcc, exec, s[0:1]
	v_mov_b32_e32 v2, 0
	s_cbranch_vccnz .LBB0_8
; %bb.1:
	s_load_dwordx2 s[0:1], s[4:5], 0x10
	s_add_u32 s6, s2, 8
	s_addc_u32 s7, s3, 0
	v_mov_b32_e32 v1, 0
	v_mov_b32_e32 v2, 0
	s_waitcnt lgkmcnt(0)
	s_add_u32 s14, s0, 8
	s_addc_u32 s15, s1, 0
	s_mov_b64 s[16:17], 1
.LBB0_2:                                ; =>This Inner Loop Header: Depth=1
	s_load_dwordx2 s[18:19], s[14:15], 0x0
                                        ; implicit-def: $vgpr7_vgpr8
	s_waitcnt lgkmcnt(0)
	v_or_b32_e32 v4, s19, v6
	v_cmp_ne_u64_e32 vcc, 0, v[3:4]
	s_and_saveexec_b64 s[0:1], vcc
	s_xor_b64 s[20:21], exec, s[0:1]
	s_cbranch_execz .LBB0_4
; %bb.3:                                ;   in Loop: Header=BB0_2 Depth=1
	v_cvt_f32_u32_e32 v4, s18
	v_cvt_f32_u32_e32 v7, s19
	s_sub_u32 s0, 0, s18
	s_subb_u32 s1, 0, s19
	v_mac_f32_e32 v4, 0x4f800000, v7
	v_rcp_f32_e32 v4, v4
	v_mul_f32_e32 v4, 0x5f7ffffc, v4
	v_mul_f32_e32 v7, 0x2f800000, v4
	v_trunc_f32_e32 v7, v7
	v_mac_f32_e32 v4, 0xcf800000, v7
	v_cvt_u32_f32_e32 v7, v7
	v_cvt_u32_f32_e32 v4, v4
	v_mul_lo_u32 v8, s0, v7
	v_mul_hi_u32 v9, s0, v4
	v_mul_lo_u32 v11, s1, v4
	v_mul_lo_u32 v10, s0, v4
	v_add_u32_e32 v8, v9, v8
	v_add_u32_e32 v8, v8, v11
	v_mul_hi_u32 v9, v4, v10
	v_mul_lo_u32 v11, v4, v8
	v_mul_hi_u32 v13, v4, v8
	v_mul_hi_u32 v12, v7, v10
	v_mul_lo_u32 v10, v7, v10
	v_mul_hi_u32 v14, v7, v8
	v_add_co_u32_e32 v9, vcc, v9, v11
	v_addc_co_u32_e32 v11, vcc, 0, v13, vcc
	v_mul_lo_u32 v8, v7, v8
	v_add_co_u32_e32 v9, vcc, v9, v10
	v_addc_co_u32_e32 v9, vcc, v11, v12, vcc
	v_addc_co_u32_e32 v10, vcc, 0, v14, vcc
	v_add_co_u32_e32 v8, vcc, v9, v8
	v_addc_co_u32_e32 v9, vcc, 0, v10, vcc
	v_add_co_u32_e32 v4, vcc, v4, v8
	v_addc_co_u32_e32 v7, vcc, v7, v9, vcc
	v_mul_lo_u32 v8, s0, v7
	v_mul_hi_u32 v9, s0, v4
	v_mul_lo_u32 v10, s1, v4
	v_mul_lo_u32 v11, s0, v4
	v_add_u32_e32 v8, v9, v8
	v_add_u32_e32 v8, v8, v10
	v_mul_lo_u32 v12, v4, v8
	v_mul_hi_u32 v13, v4, v11
	v_mul_hi_u32 v14, v4, v8
	;; [unrolled: 1-line block ×3, first 2 shown]
	v_mul_lo_u32 v11, v7, v11
	v_mul_hi_u32 v9, v7, v8
	v_add_co_u32_e32 v12, vcc, v13, v12
	v_addc_co_u32_e32 v13, vcc, 0, v14, vcc
	v_mul_lo_u32 v8, v7, v8
	v_add_co_u32_e32 v11, vcc, v12, v11
	v_addc_co_u32_e32 v10, vcc, v13, v10, vcc
	v_addc_co_u32_e32 v9, vcc, 0, v9, vcc
	v_add_co_u32_e32 v8, vcc, v10, v8
	v_addc_co_u32_e32 v9, vcc, 0, v9, vcc
	v_add_co_u32_e32 v4, vcc, v4, v8
	v_addc_co_u32_e32 v9, vcc, v7, v9, vcc
	v_mad_u64_u32 v[7:8], s[0:1], v5, v9, 0
	v_mul_hi_u32 v10, v5, v4
	v_add_co_u32_e32 v11, vcc, v10, v7
	v_addc_co_u32_e32 v12, vcc, 0, v8, vcc
	v_mad_u64_u32 v[7:8], s[0:1], v6, v4, 0
	v_mad_u64_u32 v[9:10], s[0:1], v6, v9, 0
	v_add_co_u32_e32 v4, vcc, v11, v7
	v_addc_co_u32_e32 v4, vcc, v12, v8, vcc
	v_addc_co_u32_e32 v7, vcc, 0, v10, vcc
	v_add_co_u32_e32 v4, vcc, v4, v9
	v_addc_co_u32_e32 v9, vcc, 0, v7, vcc
	v_mul_lo_u32 v10, s19, v4
	v_mul_lo_u32 v11, s18, v9
	v_mad_u64_u32 v[7:8], s[0:1], s18, v4, 0
	v_add3_u32 v8, v8, v11, v10
	v_sub_u32_e32 v10, v6, v8
	v_mov_b32_e32 v11, s19
	v_sub_co_u32_e32 v7, vcc, v5, v7
	v_subb_co_u32_e64 v10, s[0:1], v10, v11, vcc
	v_subrev_co_u32_e64 v11, s[0:1], s18, v7
	v_subbrev_co_u32_e64 v10, s[0:1], 0, v10, s[0:1]
	v_cmp_le_u32_e64 s[0:1], s19, v10
	v_cndmask_b32_e64 v12, 0, -1, s[0:1]
	v_cmp_le_u32_e64 s[0:1], s18, v11
	v_cndmask_b32_e64 v11, 0, -1, s[0:1]
	v_cmp_eq_u32_e64 s[0:1], s19, v10
	v_cndmask_b32_e64 v10, v12, v11, s[0:1]
	v_add_co_u32_e64 v11, s[0:1], 2, v4
	v_addc_co_u32_e64 v12, s[0:1], 0, v9, s[0:1]
	v_add_co_u32_e64 v13, s[0:1], 1, v4
	v_addc_co_u32_e64 v14, s[0:1], 0, v9, s[0:1]
	v_subb_co_u32_e32 v8, vcc, v6, v8, vcc
	v_cmp_ne_u32_e64 s[0:1], 0, v10
	v_cmp_le_u32_e32 vcc, s19, v8
	v_cndmask_b32_e64 v10, v14, v12, s[0:1]
	v_cndmask_b32_e64 v12, 0, -1, vcc
	v_cmp_le_u32_e32 vcc, s18, v7
	v_cndmask_b32_e64 v7, 0, -1, vcc
	v_cmp_eq_u32_e32 vcc, s19, v8
	v_cndmask_b32_e32 v7, v12, v7, vcc
	v_cmp_ne_u32_e32 vcc, 0, v7
	v_cndmask_b32_e64 v7, v13, v11, s[0:1]
	v_cndmask_b32_e32 v8, v9, v10, vcc
	v_cndmask_b32_e32 v7, v4, v7, vcc
.LBB0_4:                                ;   in Loop: Header=BB0_2 Depth=1
	s_andn2_saveexec_b64 s[0:1], s[20:21]
	s_cbranch_execz .LBB0_6
; %bb.5:                                ;   in Loop: Header=BB0_2 Depth=1
	v_cvt_f32_u32_e32 v4, s18
	s_sub_i32 s20, 0, s18
	v_rcp_iflag_f32_e32 v4, v4
	v_mul_f32_e32 v4, 0x4f7ffffe, v4
	v_cvt_u32_f32_e32 v4, v4
	v_mul_lo_u32 v7, s20, v4
	v_mul_hi_u32 v7, v4, v7
	v_add_u32_e32 v4, v4, v7
	v_mul_hi_u32 v4, v5, v4
	v_mul_lo_u32 v7, v4, s18
	v_add_u32_e32 v8, 1, v4
	v_sub_u32_e32 v7, v5, v7
	v_subrev_u32_e32 v9, s18, v7
	v_cmp_le_u32_e32 vcc, s18, v7
	v_cndmask_b32_e32 v7, v7, v9, vcc
	v_cndmask_b32_e32 v4, v4, v8, vcc
	v_add_u32_e32 v8, 1, v4
	v_cmp_le_u32_e32 vcc, s18, v7
	v_cndmask_b32_e32 v7, v4, v8, vcc
	v_mov_b32_e32 v8, v3
.LBB0_6:                                ;   in Loop: Header=BB0_2 Depth=1
	s_or_b64 exec, exec, s[0:1]
	v_mul_lo_u32 v4, v8, s18
	v_mul_lo_u32 v11, v7, s19
	v_mad_u64_u32 v[9:10], s[0:1], v7, s18, 0
	s_load_dwordx2 s[0:1], s[6:7], 0x0
	s_add_u32 s16, s16, 1
	v_add3_u32 v4, v10, v11, v4
	v_sub_co_u32_e32 v5, vcc, v5, v9
	v_subb_co_u32_e32 v4, vcc, v6, v4, vcc
	s_waitcnt lgkmcnt(0)
	v_mul_lo_u32 v4, s0, v4
	v_mul_lo_u32 v6, s1, v5
	v_mad_u64_u32 v[1:2], s[0:1], s0, v5, v[1:2]
	s_addc_u32 s17, s17, 0
	s_add_u32 s6, s6, 8
	v_add3_u32 v2, v6, v2, v4
	v_mov_b32_e32 v4, s10
	v_mov_b32_e32 v5, s11
	s_addc_u32 s7, s7, 0
	v_cmp_ge_u64_e32 vcc, s[16:17], v[4:5]
	s_add_u32 s14, s14, 8
	s_addc_u32 s15, s15, 0
	s_cbranch_vccnz .LBB0_9
; %bb.7:                                ;   in Loop: Header=BB0_2 Depth=1
	v_mov_b32_e32 v5, v7
	v_mov_b32_e32 v6, v8
	s_branch .LBB0_2
.LBB0_8:
	v_mov_b32_e32 v8, v6
	v_mov_b32_e32 v7, v5
.LBB0_9:
	s_lshl_b64 s[0:1], s[10:11], 3
	s_add_u32 s0, s2, s0
	s_addc_u32 s1, s3, s1
	s_load_dwordx2 s[2:3], s[0:1], 0x0
	s_load_dwordx2 s[6:7], s[4:5], 0x20
                                        ; implicit-def: $vgpr6
	s_waitcnt lgkmcnt(0)
	v_mad_u64_u32 v[1:2], s[0:1], s2, v7, v[1:2]
	s_mov_b32 s0, 0x1f07c20
	v_mul_lo_u32 v3, s2, v8
	v_mul_lo_u32 v4, s3, v7
	v_mul_hi_u32 v5, v0, s0
	v_cmp_gt_u64_e64 s[0:1], s[6:7], v[7:8]
	v_cmp_le_u64_e32 vcc, s[6:7], v[7:8]
	v_add3_u32 v2, v4, v2, v3
	v_mul_u32_u24_e32 v3, 0x84, v5
	v_sub_u32_e32 v0, v0, v3
                                        ; implicit-def: $vgpr4
                                        ; implicit-def: $vgpr7
	s_and_saveexec_b64 s[2:3], vcc
	s_xor_b64 s[2:3], exec, s[2:3]
; %bb.10:
	v_add_u32_e32 v4, 0x84, v0
	v_add_u32_e32 v7, 0x108, v0
	;; [unrolled: 1-line block ×3, first 2 shown]
; %bb.11:
	s_or_saveexec_b64 s[2:3], s[2:3]
	v_lshlrev_b64 v[2:3], 2, v[1:2]
	v_lshl_add_u32 v16, v0, 2, 0
	s_xor_b64 exec, exec, s[2:3]
	s_cbranch_execz .LBB0_13
; %bb.12:
	v_mov_b32_e32 v1, 0
	v_mov_b32_e32 v4, s13
	v_add_co_u32_e32 v6, vcc, s12, v2
	v_addc_co_u32_e32 v7, vcc, v4, v3, vcc
	v_lshlrev_b64 v[4:5], 2, v[0:1]
	v_add_u32_e32 v19, 0x800, v16
	v_add_co_u32_e32 v4, vcc, v6, v4
	v_addc_co_u32_e32 v5, vcc, v7, v5, vcc
	global_load_dword v1, v[4:5], off
	global_load_dword v8, v[4:5], off offset:528
	global_load_dword v9, v[4:5], off offset:1056
	;; [unrolled: 1-line block ×7, first 2 shown]
	v_add_co_u32_e32 v4, vcc, 0x1000, v4
	v_addc_co_u32_e32 v5, vcc, 0, v5, vcc
	global_load_dword v15, v[4:5], off offset:128
	global_load_dword v17, v[4:5], off offset:656
	;; [unrolled: 1-line block ×3, first 2 shown]
	v_add_u32_e32 v4, 0x84, v0
	v_add_u32_e32 v5, 0x400, v16
	;; [unrolled: 1-line block ×6, first 2 shown]
	s_waitcnt vmcnt(7)
	ds_write2_b32 v5, v9, v10 offset0:8 offset1:140
	s_waitcnt vmcnt(5)
	ds_write2_b32 v19, v11, v12 offset0:16 offset1:148
	ds_write2_b32 v16, v1, v8 offset1:132
	s_waitcnt vmcnt(3)
	ds_write2_b32 v20, v13, v14 offset0:24 offset1:156
	s_waitcnt vmcnt(1)
	ds_write2_b32 v21, v15, v17 offset0:32 offset1:164
	s_waitcnt vmcnt(0)
	ds_write_b32 v16, v18 offset:5280
.LBB0_13:
	s_or_b64 exec, exec, s[2:3]
	s_waitcnt lgkmcnt(0)
	s_barrier
	ds_read2_b32 v[8:9], v16 offset1:132
	v_add_u32_e32 v1, 0x400, v16
	ds_read2_b32 v[10:11], v1 offset0:8 offset1:140
	v_add_u32_e32 v1, 0x800, v16
	ds_read2_b32 v[12:13], v1 offset0:16 offset1:148
	;; [unrolled: 2-line block ×3, first 2 shown]
	s_waitcnt lgkmcnt(3)
	v_pk_add_f16 v1, v8, v9
	s_waitcnt lgkmcnt(2)
	v_pk_add_f16 v1, v1, v10
	v_pk_add_f16 v1, v1, v11
	s_waitcnt lgkmcnt(1)
	v_pk_add_f16 v1, v1, v12
	v_pk_add_f16 v1, v1, v13
	v_add_u32_e32 v20, 0x1000, v16
	ds_read2_b32 v[17:18], v20 offset0:32 offset1:164
	s_waitcnt lgkmcnt(1)
	v_pk_add_f16 v1, v1, v14
	v_pk_add_f16 v5, v15, v12
	v_pk_add_f16 v12, v12, v15 neg_lo:[0,1] neg_hi:[0,1]
	v_pk_add_f16 v1, v1, v15
	ds_read_b32 v15, v16 offset:5280
	s_waitcnt lgkmcnt(1)
	v_pk_add_f16 v1, v1, v17
	v_pk_add_f16 v21, v17, v11
	v_pk_add_f16 v11, v11, v17 neg_lo:[0,1] neg_hi:[0,1]
	v_pk_add_f16 v1, v1, v18
	s_waitcnt lgkmcnt(0)
	v_pk_add_f16 v17, v15, v9
	v_pk_add_f16 v9, v9, v15 neg_lo:[0,1] neg_hi:[0,1]
	s_mov_b32 s15, 0xb853
	v_pk_add_f16 v19, v14, v13
	v_pk_add_f16 v13, v13, v14 neg_lo:[0,1] neg_hi:[0,1]
	v_pk_add_f16 v14, v18, v10
	v_pk_add_f16 v10, v10, v18 neg_lo:[0,1] neg_hi:[0,1]
	v_pk_add_f16 v1, v1, v15
	s_movk_i32 s3, 0x3abb
	v_pk_mul_f16 v15, v9, s15 op_sel_hi:[1,0]
	s_mov_b32 s4, 0xbb47
	v_pk_fma_f16 v18, v17, s3, v15 op_sel:[0,0,1] op_sel_hi:[1,0,0]
	v_pk_fma_f16 v15, v17, s3, v15 op_sel:[0,0,1] op_sel_hi:[1,0,0] neg_lo:[0,0,1] neg_hi:[0,0,1]
	s_mov_b32 s2, 0xffff
	s_movk_i32 s5, 0x36a6
	v_pk_mul_f16 v23, v10, s4 op_sel_hi:[1,0]
	v_bfi_b32 v22, s2, v18, v15
	v_pk_fma_f16 v24, v14, s5, v23 op_sel:[0,0,1] op_sel_hi:[1,0,0]
	v_pk_fma_f16 v23, v14, s5, v23 op_sel:[0,0,1] op_sel_hi:[1,0,0] neg_lo:[0,0,1] neg_hi:[0,0,1]
	v_pk_add_f16 v22, v8, v22
	v_bfi_b32 v25, s2, v24, v23
	s_mov_b32 s7, 0xbbeb
	v_pk_add_f16 v22, v25, v22
	s_mov_b32 s6, 0xb08e
	v_pk_mul_f16 v25, v11, s7 op_sel_hi:[1,0]
	v_pk_fma_f16 v26, v21, s6, v25 op_sel:[0,0,1] op_sel_hi:[1,0,0]
	v_pk_fma_f16 v25, v21, s6, v25 op_sel:[0,0,1] op_sel_hi:[1,0,0] neg_lo:[0,0,1] neg_hi:[0,0,1]
	v_bfi_b32 v27, s2, v26, v25
	s_mov_b32 s11, 0xba0c
	v_pk_add_f16 v22, v27, v22
	s_mov_b32 s14, 0xb93d
	v_pk_mul_f16 v27, v12, s11 op_sel_hi:[1,0]
	v_pk_fma_f16 v28, v5, s14, v27 op_sel:[0,0,1] op_sel_hi:[1,0,0]
	v_pk_fma_f16 v27, v5, s14, v27 op_sel:[0,0,1] op_sel_hi:[1,0,0] neg_lo:[0,0,1] neg_hi:[0,0,1]
	;; [unrolled: 7-line block ×3, first 2 shown]
	v_bfi_b32 v31, s2, v30, v29
	v_pk_add_f16 v22, v31, v22
	v_mad_u32_u24 v31, v0, 40, v16
	s_barrier
	ds_write2_b32 v31, v1, v22 offset1:1
	v_mul_f16_sdwa v1, v9, s4 dst_sel:DWORD dst_unused:UNUSED_PAD src0_sel:WORD_1 src1_sel:DWORD
	v_fma_f16 v22, v17, s5, v1
	v_mul_f16_sdwa v32, v10, s11 dst_sel:DWORD dst_unused:UNUSED_PAD src0_sel:WORD_1 src1_sel:DWORD
	v_add_f16_e32 v22, v8, v22
	v_fma_f16 v33, v14, s14, v32
	v_add_f16_e32 v22, v33, v22
	s_movk_i32 s17, 0x3b47
	v_mul_f16_sdwa v33, v17, s5 dst_sel:DWORD dst_unused:UNUSED_PAD src0_sel:WORD_1 src1_sel:DWORD
	v_fma_f16 v34, v9, s17, v33
	s_movk_i32 s18, 0x3a0c
	v_mul_f16_sdwa v35, v14, s14 dst_sel:DWORD dst_unused:UNUSED_PAD src0_sel:WORD_1 src1_sel:DWORD
	v_add_f16_sdwa v34, v8, v34 dst_sel:DWORD dst_unused:UNUSED_PAD src0_sel:WORD_1 src1_sel:DWORD
	v_fma_f16 v36, v10, s18, v35
	v_add_f16_e32 v34, v36, v34
	v_mul_f16_sdwa v36, v9, s7 dst_sel:DWORD dst_unused:UNUSED_PAD src0_sel:WORD_1 src1_sel:DWORD
	s_movk_i32 s19, 0x3482
	v_fma_f16 v37, v17, s6, v36
	v_mul_f16_sdwa v38, v10, s19 dst_sel:DWORD dst_unused:UNUSED_PAD src0_sel:WORD_1 src1_sel:DWORD
	v_add_f16_e32 v37, v8, v37
	v_fma_f16 v39, v14, s10, v38
	v_add_f16_e32 v37, v39, v37
	s_movk_i32 s20, 0x3beb
	v_mul_f16_sdwa v39, v17, s6 dst_sel:DWORD dst_unused:UNUSED_PAD src0_sel:WORD_1 src1_sel:DWORD
	v_fma_f16 v40, v9, s20, v39
	v_mul_f16_sdwa v41, v14, s10 dst_sel:DWORD dst_unused:UNUSED_PAD src0_sel:WORD_1 src1_sel:DWORD
	v_add_f16_sdwa v40, v8, v40 dst_sel:DWORD dst_unused:UNUSED_PAD src0_sel:WORD_1 src1_sel:DWORD
	v_fma_f16 v42, v10, s16, v41
	v_add_f16_e32 v40, v42, v40
	v_mul_f16_sdwa v42, v11, s19 dst_sel:DWORD dst_unused:UNUSED_PAD src0_sel:WORD_1 src1_sel:DWORD
	v_fma_f16 v43, v21, s10, v42
	v_add_f16_e32 v22, v43, v22
	v_mul_f16_sdwa v43, v21, s10 dst_sel:DWORD dst_unused:UNUSED_PAD src0_sel:WORD_1 src1_sel:DWORD
	;; [unrolled: 3-line block ×7, first 2 shown]
	v_fma_f16 v49, v5, s3, v48
	v_add_f16_e32 v37, v49, v37
	s_movk_i32 s21, 0x3853
	v_mul_f16_sdwa v49, v5, s3 dst_sel:DWORD dst_unused:UNUSED_PAD src0_sel:WORD_1 src1_sel:DWORD
	v_fma_f16 v50, v12, s21, v49
	v_add_f16_e32 v40, v50, v40
	v_mul_f16_sdwa v50, v13, s21 dst_sel:DWORD dst_unused:UNUSED_PAD src0_sel:WORD_1 src1_sel:DWORD
	v_fma_f16 v51, v19, s3, v50
	v_add_f16_e32 v22, v51, v22
	;; [unrolled: 3-line block ×5, first 2 shown]
	v_pack_b32_f16 v37, v37, v40
	v_pack_b32_f16 v22, v22, v34
	ds_write2_b32 v31, v22, v37 offset0:2 offset1:3
	v_pk_mul_f16 v22, v17, s10 op_sel_hi:[1,0]
	v_pk_fma_f16 v34, v9, s16, v22 op_sel:[0,0,1] op_sel_hi:[1,0,0]
	v_pk_mul_f16 v40, v14, s3 op_sel_hi:[1,0]
	v_pk_fma_f16 v22, v9, s16, v22 op_sel:[0,0,1] op_sel_hi:[1,0,0] neg_lo:[1,0,0] neg_hi:[1,0,0]
	v_alignbit_b32 v37, s0, v8, 16
	v_pk_fma_f16 v54, v10, s21, v40 op_sel:[0,0,1] op_sel_hi:[1,0,0]
	v_pk_add_f16 v22, v8, v22 op_sel:[1,0] op_sel_hi:[0,1]
	v_pk_fma_f16 v40, v10, s21, v40 op_sel:[0,0,1] op_sel_hi:[1,0,0] neg_lo:[1,0,0] neg_hi:[1,0,0]
	v_pk_add_f16 v37, v37, v34
	v_pk_add_f16 v22, v40, v22
	v_pk_mul_f16 v40, v21, s14 op_sel_hi:[1,0]
	v_alignbit_b32 v34, s0, v34, 16
	v_alignbit_b32 v55, s0, v54, 16
	v_pk_add_f16 v37, v54, v37
	v_pk_fma_f16 v54, v11, s11, v40 op_sel:[0,0,1] op_sel_hi:[1,0,0]
	v_pk_fma_f16 v40, v11, s11, v40 op_sel:[0,0,1] op_sel_hi:[1,0,0] neg_lo:[1,0,0] neg_hi:[1,0,0]
	v_pk_add_f16 v34, v8, v34
	v_pk_add_f16 v22, v40, v22
	v_pk_mul_f16 v40, v5, s5 op_sel_hi:[1,0]
	v_pk_add_f16 v34, v55, v34
	v_alignbit_b32 v55, s0, v54, 16
	v_pk_add_f16 v37, v54, v37
	v_pk_fma_f16 v54, v12, s17, v40 op_sel:[0,0,1] op_sel_hi:[1,0,0]
	v_pk_fma_f16 v40, v12, s17, v40 op_sel:[0,0,1] op_sel_hi:[1,0,0] neg_lo:[1,0,0] neg_hi:[1,0,0]
	v_pk_add_f16 v22, v40, v22
	v_pk_mul_f16 v40, v19, s6 op_sel_hi:[1,0]
	v_pk_add_f16 v34, v55, v34
	v_alignbit_b32 v55, s0, v54, 16
	v_pk_add_f16 v37, v54, v37
	v_pk_fma_f16 v54, v13, s7, v40 op_sel:[0,0,1] op_sel_hi:[1,0,0]
	v_pk_add_f16 v34, v55, v34
	v_alignbit_b32 v55, s0, v54, 16
	v_pk_fma_f16 v40, v13, s7, v40 op_sel:[0,0,1] op_sel_hi:[1,0,0] neg_lo:[1,0,0] neg_hi:[1,0,0]
	v_pk_add_f16 v34, v55, v34
	v_pk_add_f16 v22, v40, v22
	;; [unrolled: 1-line block ×3, first 2 shown]
	v_alignbit_b32 v37, v37, v22, 16
	v_pack_b32_f16 v22, v34, v22
	ds_write2_b32 v31, v22, v37 offset0:5 offset1:6
	v_fma_f16 v22, v17, s6, -v36
	v_add_f16_e32 v22, v8, v22
	v_fma_f16 v34, v14, s10, -v38
	v_add_f16_e32 v22, v34, v22
	v_fma_f16 v34, v9, s7, v39
	v_add_f16_sdwa v34, v8, v34 dst_sel:DWORD dst_unused:UNUSED_PAD src0_sel:WORD_1 src1_sel:DWORD
	v_fma_f16 v36, v10, s19, v41
	v_add_f16_e32 v34, v36, v34
	v_mul_f16_sdwa v36, v9, s11 dst_sel:DWORD dst_unused:UNUSED_PAD src0_sel:WORD_1 src1_sel:DWORD
	v_fma_f16 v37, v17, s14, -v36
	v_mul_f16_sdwa v38, v10, s20 dst_sel:DWORD dst_unused:UNUSED_PAD src0_sel:WORD_1 src1_sel:DWORD
	v_fma_f16 v44, v21, s5, -v44
	v_add_f16_e32 v37, v8, v37
	v_fma_f16 v39, v14, s6, -v38
	v_add_f16_e32 v22, v44, v22
	v_fma_f16 v44, v11, s17, v45
	v_fma_f16 v48, v5, s3, -v48
	v_add_f16_e32 v37, v39, v37
	v_mul_f16_sdwa v39, v17, s14 dst_sel:DWORD dst_unused:UNUSED_PAD src0_sel:WORD_1 src1_sel:DWORD
	v_add_f16_e32 v34, v44, v34
	v_mul_f16_sdwa v44, v11, s15 dst_sel:DWORD dst_unused:UNUSED_PAD src0_sel:WORD_1 src1_sel:DWORD
	v_add_f16_e32 v22, v48, v22
	v_fma_f16 v48, v12, s15, v49
	v_fma_f16 v52, v19, s14, -v52
	v_fma_f16 v40, v9, s11, v39
	v_mul_f16_sdwa v41, v14, s6 dst_sel:DWORD dst_unused:UNUSED_PAD src0_sel:WORD_1 src1_sel:DWORD
	v_fma_f16 v45, v21, s3, -v44
	v_add_f16_e32 v34, v48, v34
	v_mul_f16_sdwa v48, v12, s16 dst_sel:DWORD dst_unused:UNUSED_PAD src0_sel:WORD_1 src1_sel:DWORD
	v_add_f16_e32 v22, v52, v22
	v_fma_f16 v52, v13, s11, v53
	v_add_f16_sdwa v40, v8, v40 dst_sel:DWORD dst_unused:UNUSED_PAD src0_sel:WORD_1 src1_sel:DWORD
	v_fma_f16 v54, v10, s20, v41
	v_add_f16_e32 v37, v45, v37
	v_mul_f16_sdwa v45, v21, s3 dst_sel:DWORD dst_unused:UNUSED_PAD src0_sel:WORD_1 src1_sel:DWORD
	v_fma_f16 v49, v5, s10, -v48
	v_add_f16_e32 v34, v52, v34
	v_mul_f16_sdwa v52, v13, s17 dst_sel:DWORD dst_unused:UNUSED_PAD src0_sel:WORD_1 src1_sel:DWORD
	v_add_f16_e32 v40, v54, v40
	v_fma_f16 v54, v11, s15, v45
	v_add_f16_e32 v37, v49, v37
	v_mul_f16_sdwa v49, v5, s10 dst_sel:DWORD dst_unused:UNUSED_PAD src0_sel:WORD_1 src1_sel:DWORD
	v_fma_f16 v53, v19, s5, -v52
	v_add_f16_e32 v40, v54, v40
	v_fma_f16 v54, v12, s16, v49
	v_add_f16_e32 v37, v53, v37
	v_mul_f16_sdwa v53, v19, s5 dst_sel:DWORD dst_unused:UNUSED_PAD src0_sel:WORD_1 src1_sel:DWORD
	v_add_f16_e32 v40, v54, v40
	v_fma_f16 v54, v13, s17, v53
	v_add_f16_e32 v40, v54, v40
	v_pack_b32_f16 v22, v22, v34
	v_pack_b32_f16 v34, v37, v40
	ds_write2_b32 v31, v34, v22 offset0:7 offset1:8
	v_fma_f16 v1, v17, s5, -v1
	v_fma_f16 v17, v17, s14, v36
	v_fma_f16 v22, v9, s4, v33
	;; [unrolled: 1-line block ×3, first 2 shown]
	v_bfi_b32 v15, s2, v15, v18
	v_add_f16_e32 v1, v8, v1
	v_add_f16_sdwa v18, v8, v22 dst_sel:DWORD dst_unused:UNUSED_PAD src0_sel:WORD_1 src1_sel:DWORD
	v_add_f16_e32 v17, v8, v17
	v_add_f16_sdwa v9, v8, v9 dst_sel:DWORD dst_unused:UNUSED_PAD src0_sel:WORD_1 src1_sel:DWORD
	v_pk_add_f16 v8, v8, v15
	v_fma_f16 v15, v14, s14, -v32
	v_add_f16_e32 v1, v15, v1
	v_fma_f16 v15, v10, s11, v35
	v_fma_f16 v10, v10, s7, v41
	v_add_f16_e32 v9, v10, v9
	v_fma_f16 v10, v21, s10, -v42
	v_add_f16_e32 v1, v10, v1
	v_fma_f16 v10, v11, s19, v43
	v_fma_f16 v11, v11, s21, v45
	v_add_f16_e32 v15, v15, v18
	v_add_f16_e32 v9, v11, v9
	v_fma_f16 v11, v5, s6, -v46
	v_fma_f16 v14, v14, s6, v38
	v_add_f16_e32 v10, v10, v15
	v_add_f16_e32 v1, v11, v1
	v_fma_f16 v11, v12, s20, v47
	v_add_f16_e32 v14, v14, v17
	v_fma_f16 v15, v21, s3, v44
	;; [unrolled: 2-line block ×4, first 2 shown]
	v_add_f16_e32 v9, v11, v9
	v_fma_f16 v11, v19, s3, -v50
	v_add_f16_e32 v5, v5, v14
	v_add_f16_e32 v14, v11, v1
	v_fma_f16 v1, v13, s21, v51
	v_add_f16_e32 v15, v1, v10
	v_fma_f16 v1, v19, s5, v52
	;; [unrolled: 2-line block ×3, first 2 shown]
	v_add_f16_e32 v5, v5, v9
	v_pack_b32_f16 v1, v1, v5
	ds_write_b32 v31, v1 offset:16
	v_bfi_b32 v1, s2, v23, v24
	v_pk_add_f16 v1, v1, v8
	v_bfi_b32 v5, s2, v25, v26
	v_pk_add_f16 v1, v5, v1
	;; [unrolled: 2-line block ×4, first 2 shown]
	v_pack_b32_f16 v1, v14, v15
	ds_write2_b32 v31, v1, v21 offset0:9 offset1:10
	v_add_u32_e32 v1, 0x600, v16
	s_waitcnt lgkmcnt(0)
	s_barrier
	ds_read2_b32 v[8:9], v1 offset0:100 offset1:232
	v_add_u32_e32 v1, 0xb80, v16
	v_lshl_add_u32 v19, v4, 2, 0
	ds_read2_b32 v[10:11], v1 offset0:12 offset1:232
	ds_read_b32 v5, v19
	ds_read2_b32 v[12:13], v20 offset0:76 offset1:208
	v_lshl_add_u32 v18, v7, 2, 0
	ds_read_b32 v20, v16
	ds_read_b32 v1, v18
	s_movk_i32 s2, 0x58
	v_cmp_gt_u32_e32 vcc, s2, v0
	v_lshrrev_b32_e32 v26, 16, v21
	v_lshl_add_u32 v17, v6, 2, 0
                                        ; implicit-def: $vgpr25
                                        ; implicit-def: $vgpr24
	s_and_saveexec_b64 s[2:3], vcc
	s_cbranch_execz .LBB0_15
; %bb.14:
	ds_read_b32 v14, v17
	ds_read_b32 v24, v16 offset:5456
	ds_read_b32 v21, v16 offset:3520
	s_waitcnt lgkmcnt(2)
	v_lshrrev_b32_e32 v15, 16, v14
	s_waitcnt lgkmcnt(1)
	v_lshrrev_b32_e32 v25, 16, v24
	;; [unrolled: 2-line block ×3, first 2 shown]
.LBB0_15:
	s_or_b64 exec, exec, s[2:3]
	s_movk_i32 s2, 0x75
	v_mul_lo_u16_sdwa v22, v0, s2 dst_sel:DWORD dst_unused:UNUSED_PAD src0_sel:BYTE_0 src1_sel:DWORD
	v_sub_u16_sdwa v23, v0, v22 dst_sel:DWORD dst_unused:UNUSED_PAD src0_sel:DWORD src1_sel:BYTE_1
	v_lshrrev_b16_e32 v23, 1, v23
	v_and_b32_e32 v23, 0x7f, v23
	s_mov_b32 s2, 0xba2f
	v_add_u16_sdwa v22, v23, v22 dst_sel:DWORD dst_unused:UNUSED_PAD src0_sel:DWORD src1_sel:BYTE_1
	v_mul_u32_u24_sdwa v23, v4, s2 dst_sel:DWORD dst_unused:UNUSED_PAD src0_sel:WORD_0 src1_sel:DWORD
	v_lshrrev_b16_e32 v35, 3, v22
	v_lshrrev_b32_e32 v37, 19, v23
	v_mul_lo_u16_e32 v22, 11, v35
	v_mul_lo_u16_e32 v23, 11, v37
	v_sub_u16_e32 v36, v0, v22
	v_mov_b32_e32 v22, 3
	v_sub_u16_e32 v38, v4, v23
	v_lshlrev_b32_sdwa v22, v22, v36 dst_sel:DWORD dst_unused:UNUSED_PAD src0_sel:DWORD src1_sel:BYTE_0
	v_lshlrev_b32_e32 v23, 3, v38
	global_load_dwordx2 v[27:28], v22, s[8:9]
	global_load_dwordx2 v[29:30], v23, s[8:9]
	v_mul_u32_u24_sdwa v22, v7, s2 dst_sel:DWORD dst_unused:UNUSED_PAD src0_sel:WORD_0 src1_sel:DWORD
	v_lshrrev_b32_e32 v39, 19, v22
	v_mul_lo_u16_e32 v22, 11, v39
	v_sub_u16_e32 v40, v7, v22
	v_lshlrev_b32_e32 v22, 3, v40
	v_mul_u32_u24_sdwa v23, v6, s2 dst_sel:DWORD dst_unused:UNUSED_PAD src0_sel:WORD_0 src1_sel:DWORD
	global_load_dwordx2 v[31:32], v22, s[8:9]
	v_lshrrev_b32_e32 v22, 19, v23
	v_mul_lo_u16_e32 v23, 11, v22
	v_sub_u16_e32 v23, v6, v23
	v_lshlrev_b32_e32 v33, 3, v23
	global_load_dwordx2 v[33:34], v33, s[8:9]
	s_waitcnt lgkmcnt(5)
	v_lshrrev_b32_e32 v44, 16, v8
	s_waitcnt lgkmcnt(4)
	v_lshrrev_b32_e32 v45, 16, v11
	v_lshrrev_b32_e32 v46, 16, v9
	s_waitcnt lgkmcnt(2)
	v_lshrrev_b32_e32 v47, 16, v12
	;; [unrolled: 3-line block ×3, first 2 shown]
	v_lshrrev_b32_e32 v42, 16, v5
	s_mov_b32 s2, 0xbaee
	s_movk_i32 s3, 0x3aee
	v_lshrrev_b32_e32 v49, 16, v13
	v_mul_u32_u24_e32 v35, 0x84, v35
	s_waitcnt lgkmcnt(0)
	v_lshrrev_b32_e32 v43, 16, v1
	s_waitcnt vmcnt(0)
	s_barrier
	v_mul_f16_sdwa v50, v27, v44 dst_sel:DWORD dst_unused:UNUSED_PAD src0_sel:WORD_1 src1_sel:DWORD
	v_mul_f16_sdwa v51, v27, v8 dst_sel:DWORD dst_unused:UNUSED_PAD src0_sel:WORD_1 src1_sel:DWORD
	;; [unrolled: 1-line block ×9, first 2 shown]
	v_fma_f16 v44, v27, v44, -v51
	v_fma_f16 v45, v28, v45, -v53
	v_fma_f16 v8, v27, v8, v50
	v_fma_f16 v27, v28, v11, v52
	v_mul_f16_sdwa v28, v25, v34 dst_sel:DWORD dst_unused:UNUSED_PAD src0_sel:DWORD src1_sel:WORD_1
	v_mul_f16_sdwa v50, v24, v34 dst_sel:DWORD dst_unused:UNUSED_PAD src0_sel:DWORD src1_sel:WORD_1
	v_fma_f16 v52, v29, v9, v54
	v_fma_f16 v29, v29, v46, -v55
	v_fma_f16 v46, v30, v12, v56
	v_mul_f16_sdwa v59, v31, v10 dst_sel:DWORD dst_unused:UNUSED_PAD src0_sel:WORD_1 src1_sel:DWORD
	v_mul_f16_sdwa v51, v26, v33 dst_sel:DWORD dst_unused:UNUSED_PAD src0_sel:DWORD src1_sel:WORD_1
	v_mul_f16_sdwa v53, v21, v33 dst_sel:DWORD dst_unused:UNUSED_PAD src0_sel:DWORD src1_sel:WORD_1
	v_fma_f16 v30, v30, v47, -v57
	v_fma_f16 v47, v31, v10, v58
	v_fma_f16 v10, v24, v34, v28
	v_fma_f16 v12, v25, v34, -v50
	v_add_f16_e32 v34, v52, v46
	v_fma_f16 v9, v21, v33, v51
	v_fma_f16 v11, v26, v33, -v53
	v_sub_f16_e32 v25, v44, v45
	v_add_f16_e32 v26, v41, v44
	v_add_f16_e32 v28, v44, v45
	v_add_f16_e32 v33, v5, v52
	v_sub_f16_e32 v44, v29, v30
	v_fma_f16 v5, v34, -0.5, v5
	v_add_f16_e32 v21, v20, v8
	v_add_f16_e32 v26, v26, v45
	v_fma_f16 v45, v44, s2, v5
	v_fma_f16 v44, v44, s3, v5
	v_add_f16_e32 v5, v42, v29
	v_fma_f16 v31, v31, v48, -v59
	v_add_f16_e32 v24, v8, v27
	v_sub_f16_e32 v8, v8, v27
	v_add_f16_e32 v27, v21, v27
	v_fma_f16 v21, v28, -0.5, v41
	v_add_f16_e32 v48, v5, v30
	v_add_f16_e32 v5, v29, v30
	v_mul_f16_sdwa v60, v32, v49 dst_sel:DWORD dst_unused:UNUSED_PAD src0_sel:WORD_1 src1_sel:DWORD
	v_fma_f16 v34, v8, s3, v21
	v_fma_f16 v41, v8, s2, v21
	v_fma_f16 v5, v5, -0.5, v42
	v_sub_f16_e32 v8, v52, v46
	v_mul_f16_sdwa v61, v32, v13 dst_sel:DWORD dst_unused:UNUSED_PAD src0_sel:WORD_1 src1_sel:DWORD
	v_fma_f16 v13, v32, v13, v60
	v_fma_f16 v20, v24, -0.5, v20
	v_fma_f16 v29, v8, s3, v5
	v_fma_f16 v30, v8, s2, v5
	v_add_f16_e32 v5, v1, v47
	v_mov_b32_e32 v8, 2
	v_fma_f16 v32, v32, v49, -v61
	v_add_f16_e32 v28, v33, v46
	v_fma_f16 v33, v25, s2, v20
	v_fma_f16 v25, v25, s3, v20
	v_add_f16_e32 v42, v5, v13
	v_add_f16_e32 v5, v47, v13
	v_lshlrev_b32_sdwa v36, v8, v36 dst_sel:DWORD dst_unused:UNUSED_PAD src0_sel:DWORD src1_sel:BYTE_0
	v_fma_f16 v1, v5, -0.5, v1
	v_sub_f16_e32 v5, v31, v32
	v_add3_u32 v35, 0, v35, v36
	v_pack_b32_f16 v26, v27, v26
	v_pack_b32_f16 v27, v33, v34
	;; [unrolled: 1-line block ×3, first 2 shown]
	v_fma_f16 v46, v5, s2, v1
	v_fma_f16 v49, v5, s3, v1
	v_add_f16_e32 v1, v43, v31
	ds_write2_b32 v35, v26, v27 offset1:11
	ds_write_b32 v35, v25 offset:88
	v_mul_u32_u24_e32 v25, 0x84, v37
	v_lshlrev_b32_e32 v26, 2, v38
	v_add_f16_e32 v50, v1, v32
	v_add_f16_e32 v1, v31, v32
	v_add3_u32 v25, 0, v25, v26
	v_pack_b32_f16 v26, v28, v48
	v_pack_b32_f16 v27, v45, v29
	v_fma_f16 v1, v1, -0.5, v43
	v_sub_f16_e32 v5, v47, v13
	ds_write2_b32 v25, v26, v27 offset1:11
	v_pack_b32_f16 v26, v44, v30
	v_fma_f16 v31, v5, s3, v1
	v_fma_f16 v32, v5, s2, v1
	v_add_f16_e32 v1, v9, v10
	v_add_f16_e32 v5, v11, v12
	ds_write_b32 v25, v26 offset:88
	v_mul_u32_u24_e32 v25, 0x84, v39
	v_lshlrev_b32_e32 v26, 2, v40
	v_fma_f16 v13, v1, -0.5, v14
	v_sub_f16_e32 v20, v11, v12
	v_fma_f16 v21, v5, -0.5, v15
	v_sub_f16_e32 v24, v9, v10
	v_add3_u32 v25, 0, v25, v26
	v_pack_b32_f16 v26, v42, v50
	v_pack_b32_f16 v27, v46, v31
	v_fma_f16 v1, v20, s3, v13
	v_fma_f16 v5, v24, s2, v21
	ds_write2_b32 v25, v26, v27 offset1:11
	v_pack_b32_f16 v26, v49, v32
	ds_write_b32 v25, v26 offset:88
	s_and_saveexec_b64 s[2:3], vcc
	s_cbranch_execz .LBB0_17
; %bb.16:
	v_add_f16_e32 v9, v14, v9
	v_mul_f16_e32 v20, 0x3aee, v20
	v_mul_f16_e32 v24, 0x3aee, v24
	v_add_f16_e32 v11, v15, v11
	v_add_f16_e32 v9, v9, v10
	v_mul_lo_u16_e32 v10, 33, v22
	v_add_f16_e32 v21, v24, v21
	v_sub_f16_e32 v13, v13, v20
	v_add_f16_e32 v11, v11, v12
	v_lshlrev_b32_e32 v12, 2, v23
	v_lshlrev_b32_e32 v10, 2, v10
	v_add3_u32 v10, 0, v12, v10
	v_pack_b32_f16 v9, v9, v11
	v_pack_b32_f16 v11, v13, v21
	s_mov_b32 s4, 0x5040100
	ds_write2_b32 v10, v9, v11 offset1:11
	v_perm_b32 v9, v5, v1, s4
	ds_write_b32 v10, v9 offset:88
.LBB0_17:
	s_or_b64 exec, exec, s[2:3]
	v_add_u32_e32 v9, 0x800, v16
	s_waitcnt lgkmcnt(0)
	s_barrier
	ds_read_b32 v11, v16
	ds_read_b32 v15, v19
	;; [unrolled: 1-line block ×4, first 2 shown]
	ds_read2_b32 v[13:14], v9 offset0:16 offset1:148
	v_add_u32_e32 v9, 0xc00, v16
	s_movk_i32 s2, 0xf9
	ds_read2_b32 v[24:25], v9 offset0:24 offset1:156
	v_mul_lo_u16_sdwa v9, v0, s2 dst_sel:DWORD dst_unused:UNUSED_PAD src0_sel:BYTE_0 src1_sel:DWORD
	v_lshrrev_b16_e32 v9, 13, v9
	v_mul_lo_u16_e32 v10, 33, v9
	v_sub_u16_e32 v10, v0, v10
	v_mov_b32_e32 v20, 10
	v_mul_u32_u24_sdwa v20, v10, v20 dst_sel:DWORD dst_unused:UNUSED_PAD src0_sel:BYTE_0 src1_sel:DWORD
	v_lshlrev_b32_e32 v36, 2, v20
	global_load_dwordx4 v[20:23], v36, s[8:9] offset:88
	s_waitcnt lgkmcnt(4)
	v_lshrrev_b32_e32 v37, 16, v15
	v_add_u32_e32 v12, 0x1000, v16
	ds_read2_b32 v[26:27], v12 offset0:32 offset1:164
	s_waitcnt lgkmcnt(1)
	v_lshrrev_b32_e32 v30, 16, v24
	v_lshrrev_b32_e32 v31, 16, v25
	ds_read_b32 v34, v16 offset:5280
	s_mov_b32 s7, 0xb853
	s_waitcnt lgkmcnt(1)
	v_lshrrev_b32_e32 v32, 16, v26
	v_lshrrev_b32_e32 v33, 16, v27
	s_movk_i32 s10, 0x3abb
	s_waitcnt lgkmcnt(0)
	v_lshrrev_b32_e32 v35, 16, v34
	s_movk_i32 s11, 0x3853
	s_mov_b32 s3, 0xbb47
	s_movk_i32 s4, 0x36a6
	s_movk_i32 s5, 0x3b47
	s_mov_b32 s2, 0xbbeb
	s_movk_i32 s14, 0x3beb
	s_mov_b32 s15, 0xba0c
	s_mov_b32 s16, 0xb93d
	s_movk_i32 s17, 0x3a0c
	s_mov_b32 s18, 0xb482
	s_mov_b32 s19, 0xbbad
	s_movk_i32 s20, 0x3482
	v_mul_u32_u24_e32 v9, 0x5ac, v9
	v_lshlrev_b32_sdwa v8, v8, v10 dst_sel:DWORD dst_unused:UNUSED_PAD src0_sel:DWORD src1_sel:BYTE_0
	v_add3_u32 v8, 0, v9, v8
	s_waitcnt vmcnt(0)
	v_mul_f16_sdwa v38, v20, v37 dst_sel:DWORD dst_unused:UNUSED_PAD src0_sel:WORD_1 src1_sel:DWORD
	v_fma_f16 v38, v20, v15, v38
	v_mul_f16_sdwa v15, v20, v15 dst_sel:DWORD dst_unused:UNUSED_PAD src0_sel:WORD_1 src1_sel:DWORD
	v_fma_f16 v15, v20, v37, -v15
	v_lshrrev_b32_e32 v20, 16, v28
	v_mul_f16_sdwa v37, v21, v20 dst_sel:DWORD dst_unused:UNUSED_PAD src0_sel:WORD_1 src1_sel:DWORD
	v_fma_f16 v37, v21, v28, v37
	v_mul_f16_sdwa v28, v21, v28 dst_sel:DWORD dst_unused:UNUSED_PAD src0_sel:WORD_1 src1_sel:DWORD
	v_fma_f16 v28, v21, v20, -v28
	v_lshrrev_b32_e32 v20, 16, v29
	;; [unrolled: 5-line block ×3, first 2 shown]
	v_mul_f16_sdwa v21, v23, v20 dst_sel:DWORD dst_unused:UNUSED_PAD src0_sel:WORD_1 src1_sel:DWORD
	v_fma_f16 v40, v23, v13, v21
	v_mul_f16_sdwa v13, v23, v13 dst_sel:DWORD dst_unused:UNUSED_PAD src0_sel:WORD_1 src1_sel:DWORD
	v_fma_f16 v41, v23, v20, -v13
	global_load_dwordx4 v[20:23], v36, s[8:9] offset:104
	v_lshrrev_b32_e32 v13, 16, v14
	s_waitcnt vmcnt(0)
	v_mul_f16_sdwa v42, v20, v13 dst_sel:DWORD dst_unused:UNUSED_PAD src0_sel:WORD_1 src1_sel:DWORD
	v_fma_f16 v42, v20, v14, v42
	v_mul_f16_sdwa v14, v20, v14 dst_sel:DWORD dst_unused:UNUSED_PAD src0_sel:WORD_1 src1_sel:DWORD
	v_fma_f16 v20, v20, v13, -v14
	v_mul_f16_sdwa v13, v30, v21 dst_sel:DWORD dst_unused:UNUSED_PAD src0_sel:DWORD src1_sel:WORD_1
	v_fma_f16 v43, v24, v21, v13
	v_mul_f16_sdwa v13, v24, v21 dst_sel:DWORD dst_unused:UNUSED_PAD src0_sel:DWORD src1_sel:WORD_1
	v_fma_f16 v21, v30, v21, -v13
	v_mul_f16_sdwa v13, v31, v22 dst_sel:DWORD dst_unused:UNUSED_PAD src0_sel:DWORD src1_sel:WORD_1
	v_fma_f16 v24, v25, v22, v13
	v_mul_f16_sdwa v13, v25, v22 dst_sel:DWORD dst_unused:UNUSED_PAD src0_sel:DWORD src1_sel:WORD_1
	;; [unrolled: 4-line block ×3, first 2 shown]
	v_fma_f16 v23, v32, v23, -v13
	global_load_dwordx2 v[13:14], v36, s[8:9] offset:120
	v_add_f16_sdwa v31, v15, v11 dst_sel:DWORD dst_unused:UNUSED_PAD src0_sel:DWORD src1_sel:WORD_1
	v_add_f16_e32 v31, v31, v28
	v_add_f16_e32 v31, v31, v29
	;; [unrolled: 1-line block ×7, first 2 shown]
	s_waitcnt vmcnt(0)
	s_barrier
	v_mul_f16_sdwa v26, v33, v13 dst_sel:DWORD dst_unused:UNUSED_PAD src0_sel:DWORD src1_sel:WORD_1
	v_fma_f16 v26, v27, v13, v26
	v_mul_f16_sdwa v27, v27, v13 dst_sel:DWORD dst_unused:UNUSED_PAD src0_sel:DWORD src1_sel:WORD_1
	v_fma_f16 v13, v33, v13, -v27
	v_mul_f16_sdwa v27, v35, v14 dst_sel:DWORD dst_unused:UNUSED_PAD src0_sel:DWORD src1_sel:WORD_1
	v_mul_f16_sdwa v30, v34, v14 dst_sel:DWORD dst_unused:UNUSED_PAD src0_sel:DWORD src1_sel:WORD_1
	v_fma_f16 v27, v34, v14, v27
	v_fma_f16 v14, v35, v14, -v30
	v_add_f16_e32 v30, v38, v11
	v_add_f16_e32 v30, v30, v37
	;; [unrolled: 1-line block ×12, first 2 shown]
	v_sub_f16_e32 v14, v15, v14
	v_add_f16_e32 v30, v30, v27
	v_add_f16_e32 v32, v38, v27
	v_sub_f16_e32 v27, v38, v27
	v_mul_f16_e32 v15, 0xb853, v14
	v_mul_f16_e32 v35, 0x3abb, v33
	;; [unrolled: 1-line block ×10, first 2 shown]
	v_fma_f16 v34, v32, s10, v15
	v_fma_f16 v36, v27, s11, v35
	v_fma_f16 v15, v32, s10, -v15
	v_fma_f16 v35, v27, s7, v35
	v_fma_f16 v44, v32, s4, v38
	v_fma_f16 v46, v27, s5, v45
	v_fma_f16 v38, v32, s4, -v38
	v_fma_f16 v45, v27, s3, v45
	;; [unrolled: 4-line block ×5, first 2 shown]
	v_add_f16_e32 v32, v28, v13
	v_sub_f16_e32 v13, v28, v13
	v_add_f16_e32 v34, v34, v11
	v_add_f16_sdwa v36, v36, v11 dst_sel:DWORD dst_unused:UNUSED_PAD src0_sel:DWORD src1_sel:WORD_1
	v_add_f16_e32 v15, v15, v11
	v_add_f16_sdwa v35, v35, v11 dst_sel:DWORD dst_unused:UNUSED_PAD src0_sel:DWORD src1_sel:WORD_1
	;; [unrolled: 2-line block ×10, first 2 shown]
	v_add_f16_e32 v27, v37, v26
	v_mul_f16_e32 v28, 0xbb47, v13
	v_fma_f16 v33, v27, s4, v28
	v_sub_f16_e32 v26, v37, v26
	v_add_f16_e32 v33, v33, v34
	v_mul_f16_e32 v34, 0x36a6, v32
	v_fma_f16 v28, v27, s4, -v28
	v_fma_f16 v37, v26, s5, v34
	v_add_f16_e32 v15, v28, v15
	v_fma_f16 v28, v26, s3, v34
	v_mul_f16_e32 v34, 0xba0c, v13
	v_add_f16_e32 v36, v37, v36
	v_add_f16_e32 v28, v28, v35
	v_fma_f16 v35, v27, s16, v34
	v_mul_f16_e32 v37, 0xb93d, v32
	v_fma_f16 v34, v27, s16, -v34
	v_add_f16_e32 v35, v35, v44
	v_fma_f16 v44, v26, s17, v37
	v_add_f16_e32 v34, v34, v38
	v_fma_f16 v37, v26, s15, v37
	v_mul_f16_e32 v38, 0x3482, v13
	v_add_f16_e32 v44, v44, v46
	v_add_f16_e32 v37, v37, v45
	v_fma_f16 v45, v27, s19, v38
	v_mul_f16_e32 v46, 0xbbad, v32
	v_fma_f16 v38, v27, s19, -v38
	v_add_f16_e32 v45, v45, v48
	v_fma_f16 v48, v26, s18, v46
	v_add_f16_e32 v38, v38, v47
	v_fma_f16 v46, v26, s20, v46
	v_mul_f16_e32 v47, 0x3beb, v13
	v_add_f16_e32 v48, v48, v50
	v_add_f16_e32 v46, v46, v49
	v_fma_f16 v49, v27, s6, v47
	v_mul_f16_e32 v50, 0xb08e, v32
	v_fma_f16 v47, v27, s6, -v47
	v_mul_f16_e32 v13, 0x3853, v13
	v_add_f16_e32 v49, v49, v52
	v_fma_f16 v52, v26, s2, v50
	v_add_f16_e32 v47, v47, v51
	v_fma_f16 v50, v26, s14, v50
	v_fma_f16 v51, v27, s10, v13
	v_mul_f16_e32 v32, 0x3abb, v32
	v_fma_f16 v13, v27, s10, -v13
	v_add_f16_e32 v50, v50, v53
	v_fma_f16 v53, v26, s7, v32
	v_add_f16_e32 v13, v13, v14
	v_fma_f16 v14, v26, s11, v32
	v_add_f16_e32 v26, v29, v23
	v_sub_f16_e32 v23, v29, v23
	v_add_f16_e32 v11, v14, v11
	v_add_f16_e32 v14, v39, v25
	v_mul_f16_e32 v27, 0xbbeb, v23
	v_sub_f16_e32 v25, v39, v25
	v_fma_f16 v29, v14, s6, v27
	v_mul_f16_e32 v32, 0xb08e, v26
	v_fma_f16 v27, v14, s6, -v27
	v_add_f16_e32 v15, v27, v15
	v_fma_f16 v27, v25, s2, v32
	v_add_f16_e32 v27, v27, v28
	v_mul_f16_e32 v28, 0x3482, v23
	v_add_f16_e32 v29, v29, v33
	v_fma_f16 v33, v25, s14, v32
	v_fma_f16 v32, v14, s19, v28
	v_add_f16_e32 v32, v32, v35
	v_mul_f16_e32 v35, 0xbbad, v26
	v_fma_f16 v28, v14, s19, -v28
	v_add_f16_e32 v33, v33, v36
	v_fma_f16 v36, v25, s18, v35
	v_add_f16_e32 v28, v28, v34
	v_fma_f16 v34, v25, s20, v35
	v_mul_f16_e32 v35, 0x3b47, v23
	v_add_f16_e32 v34, v34, v37
	v_fma_f16 v37, v14, s4, v35
	v_mul_f16_e32 v39, 0x36a6, v26
	v_fma_f16 v35, v14, s4, -v35
	v_add_f16_e32 v36, v36, v44
	v_fma_f16 v44, v25, s3, v39
	v_add_f16_e32 v35, v35, v38
	v_fma_f16 v38, v25, s5, v39
	v_mul_f16_e32 v39, 0xb853, v23
	v_add_f16_e32 v37, v37, v45
	v_fma_f16 v45, v14, s10, v39
	v_fma_f16 v39, v14, s10, -v39
	v_mul_f16_e32 v23, 0xba0c, v23
	v_add_f16_e32 v38, v38, v46
	v_mul_f16_e32 v46, 0x3abb, v26
	v_add_f16_e32 v39, v39, v47
	v_fma_f16 v47, v14, s16, v23
	v_mul_f16_e32 v26, 0xb93d, v26
	v_fma_f16 v14, v14, s16, -v23
	v_add_f16_e32 v13, v14, v13
	v_fma_f16 v14, v25, s15, v26
	v_add_f16_e32 v23, v41, v22
	v_sub_f16_e32 v22, v41, v22
	v_add_f16_e32 v44, v44, v48
	v_add_f16_e32 v45, v45, v49
	v_fma_f16 v48, v25, s11, v46
	v_fma_f16 v46, v25, s7, v46
	;; [unrolled: 1-line block ×3, first 2 shown]
	v_add_f16_e32 v11, v14, v11
	v_add_f16_e32 v14, v40, v24
	v_mul_f16_e32 v25, 0xba0c, v22
	v_fma_f16 v26, v14, s16, v25
	v_sub_f16_e32 v24, v40, v24
	v_add_f16_e32 v26, v26, v29
	v_mul_f16_e32 v29, 0xb93d, v23
	v_fma_f16 v25, v14, s16, -v25
	v_add_f16_e32 v15, v25, v15
	v_fma_f16 v25, v24, s15, v29
	v_add_f16_e32 v25, v25, v27
	v_mul_f16_e32 v27, 0x3beb, v22
	v_fma_f16 v40, v24, s17, v29
	v_fma_f16 v29, v14, s6, v27
	v_add_f16_e32 v29, v29, v32
	v_mul_f16_e32 v32, 0xb08e, v23
	v_fma_f16 v27, v14, s6, -v27
	v_add_f16_e32 v33, v40, v33
	v_fma_f16 v40, v24, s2, v32
	v_add_f16_e32 v27, v27, v28
	v_fma_f16 v28, v24, s14, v32
	v_mul_f16_e32 v32, 0xb853, v22
	v_add_f16_e32 v28, v28, v34
	v_fma_f16 v34, v14, s10, v32
	v_add_f16_e32 v34, v34, v37
	v_mul_f16_e32 v37, 0x3abb, v23
	v_fma_f16 v32, v14, s10, -v32
	v_add_f16_e32 v36, v40, v36
	v_fma_f16 v40, v24, s11, v37
	v_add_f16_e32 v32, v32, v35
	v_fma_f16 v35, v24, s7, v37
	v_mul_f16_e32 v37, 0xb482, v22
	v_add_f16_e32 v35, v35, v38
	v_fma_f16 v38, v14, s19, v37
	v_mul_f16_e32 v41, 0xbbad, v23
	v_fma_f16 v37, v14, s19, -v37
	v_mul_f16_e32 v22, 0x3b47, v22
	v_add_f16_e32 v40, v40, v44
	v_fma_f16 v44, v24, s20, v41
	v_add_f16_e32 v37, v37, v39
	v_fma_f16 v39, v24, s18, v41
	v_fma_f16 v41, v14, s4, v22
	v_mul_f16_e32 v23, 0x36a6, v23
	v_fma_f16 v14, v14, s4, -v22
	v_add_f16_e32 v13, v14, v13
	v_fma_f16 v14, v24, s5, v23
	v_add_f16_e32 v46, v46, v50
	v_add_f16_e32 v11, v14, v11
	;; [unrolled: 1-line block ×3, first 2 shown]
	v_sub_f16_e32 v42, v42, v43
	v_sub_f16_e32 v43, v20, v21
	v_add_f16_e32 v39, v39, v46
	v_add_f16_e32 v46, v20, v21
	v_mul_f16_e32 v20, 0xb482, v43
	v_fma_f16 v21, v14, s19, v20
	v_add_f16_e32 v26, v21, v26
	v_mul_f16_e32 v21, 0xbbad, v46
	v_fma_f16 v20, v14, s19, -v20
	v_fma_f16 v22, v42, s20, v21
	v_add_f16_e32 v20, v20, v15
	v_fma_f16 v15, v42, s18, v21
	v_add_f16_e32 v33, v22, v33
	v_add_f16_e32 v22, v15, v25
	v_mul_f16_e32 v15, 0x3853, v43
	v_fma_f16 v21, v14, s10, v15
	v_add_f16_e32 v29, v21, v29
	v_mul_f16_e32 v21, 0x3abb, v46
	v_add_f16_e32 v38, v38, v45
	v_fma_f16 v45, v24, s3, v23
	v_fma_f16 v23, v42, s7, v21
	v_fma_f16 v15, v14, s10, -v15
	v_add_f16_e32 v36, v23, v36
	v_add_f16_e32 v23, v15, v27
	v_fma_f16 v15, v42, s11, v21
	v_add_f16_e32 v25, v15, v28
	v_mul_f16_e32 v15, 0xba0c, v43
	v_fma_f16 v21, v14, s16, v15
	v_mul_f16_e32 v24, 0xb93d, v46
	v_add_f16_e32 v27, v21, v34
	v_fma_f16 v21, v42, s17, v24
	v_fma_f16 v15, v14, s16, -v15
	v_add_f16_e32 v28, v21, v40
	v_add_f16_e32 v21, v15, v32
	v_fma_f16 v15, v42, s15, v24
	v_add_f16_e32 v24, v15, v35
	v_mul_f16_e32 v15, 0x3b47, v43
	v_mul_f16_e32 v34, 0x36a6, v46
	v_add_f16_e32 v52, v52, v54
	v_add_f16_e32 v51, v51, v55
	;; [unrolled: 1-line block ×3, first 2 shown]
	v_fma_f16 v32, v14, s4, v15
	v_fma_f16 v35, v42, s3, v34
	v_fma_f16 v15, v14, s4, -v15
	v_fma_f16 v34, v42, s5, v34
	v_add_f16_e32 v48, v48, v52
	v_add_f16_e32 v47, v47, v51
	;; [unrolled: 1-line block ×5, first 2 shown]
	v_mul_f16_e32 v37, 0xbbeb, v43
	v_mul_f16_e32 v39, 0xb08e, v46
	v_add_f16_e32 v44, v44, v48
	v_add_f16_e32 v41, v41, v47
	;; [unrolled: 1-line block ×4, first 2 shown]
	v_fma_f16 v38, v14, s6, v37
	v_fma_f16 v40, v42, s14, v39
	v_fma_f16 v14, v14, s6, -v37
	v_pack_b32_f16 v9, v30, v31
	v_pack_b32_f16 v10, v26, v33
	v_add_f16_e32 v35, v35, v44
	v_add_f16_e32 v38, v38, v41
	;; [unrolled: 1-line block ×4, first 2 shown]
	v_fma_f16 v14, v42, s2, v39
	ds_write2_b32 v8, v9, v10 offset1:33
	v_pack_b32_f16 v9, v29, v36
	v_pack_b32_f16 v10, v27, v28
	v_add_f16_e32 v11, v14, v11
	ds_write2_b32 v8, v9, v10 offset0:66 offset1:99
	v_pack_b32_f16 v9, v32, v35
	v_pack_b32_f16 v10, v38, v40
	ds_write2_b32 v8, v9, v10 offset0:132 offset1:165
	v_pack_b32_f16 v9, v13, v11
	v_pack_b32_f16 v10, v15, v34
	;; [unrolled: 3-line block ×3, first 2 shown]
	v_add_u32_e32 v11, 0x400, v8
	ds_write2_b32 v11, v9, v10 offset0:8 offset1:41
	v_pack_b32_f16 v9, v20, v22
	ds_write_b32 v8, v9 offset:1320
	v_add_u32_e32 v8, 0x400, v16
	v_add_u32_e32 v10, 0xa00, v16
	s_waitcnt lgkmcnt(0)
	s_barrier
	ds_read_b32 v27, v16
	ds_read2_b32 v[8:9], v8 offset0:107 offset1:239
	ds_read2_b32 v[10:11], v10 offset0:86 offset1:218
	;; [unrolled: 1-line block ×3, first 2 shown]
	ds_read_b32 v26, v19
	s_movk_i32 s2, 0x63
	v_cmp_gt_u32_e32 vcc, s2, v0
	s_and_saveexec_b64 s[2:3], vcc
	s_cbranch_execz .LBB0_19
; %bb.18:
	ds_read_b32 v21, v18
	ds_read_b32 v20, v16 offset:3960
	ds_read_b32 v1, v16 offset:5412
	;; [unrolled: 1-line block ×3, first 2 shown]
	s_waitcnt lgkmcnt(3)
	v_lshrrev_b32_e32 v24, 16, v21
	s_waitcnt lgkmcnt(2)
	v_lshrrev_b32_e32 v22, 16, v20
	;; [unrolled: 2-line block ×4, first 2 shown]
.LBB0_19:
	s_or_b64 exec, exec, s[2:3]
	v_mul_u32_u24_e32 v14, 3, v0
	v_lshlrev_b32_e32 v14, 2, v14
	global_load_dwordx3 v[28:30], v14, s[8:9] offset:1408
	v_mul_i32_i24_e32 v14, 3, v4
	v_mov_b32_e32 v15, 0
	v_lshlrev_b64 v[31:32], 2, v[14:15]
	v_mov_b32_e32 v33, s9
	v_add_co_u32_e64 v31, s[2:3], s8, v31
	v_addc_co_u32_e64 v32, s[2:3], v33, v32, s[2:3]
	global_load_dwordx3 v[31:33], v[31:32], off offset:1408
	s_waitcnt lgkmcnt(1)
	v_lshrrev_b32_e32 v38, 16, v12
	v_lshrrev_b32_e32 v39, 16, v10
	;; [unrolled: 1-line block ×7, first 2 shown]
	s_waitcnt lgkmcnt(0)
	v_lshrrev_b32_e32 v34, 16, v26
	s_waitcnt vmcnt(0)
	s_barrier
	v_mul_f16_sdwa v41, v28, v40 dst_sel:DWORD dst_unused:UNUSED_PAD src0_sel:WORD_1 src1_sel:DWORD
	v_mul_f16_sdwa v42, v28, v8 dst_sel:DWORD dst_unused:UNUSED_PAD src0_sel:WORD_1 src1_sel:DWORD
	v_mul_f16_sdwa v43, v29, v39 dst_sel:DWORD dst_unused:UNUSED_PAD src0_sel:WORD_1 src1_sel:DWORD
	v_mul_f16_sdwa v44, v29, v10 dst_sel:DWORD dst_unused:UNUSED_PAD src0_sel:WORD_1 src1_sel:DWORD
	v_mul_f16_sdwa v45, v30, v38 dst_sel:DWORD dst_unused:UNUSED_PAD src0_sel:WORD_1 src1_sel:DWORD
	v_mul_f16_sdwa v46, v30, v12 dst_sel:DWORD dst_unused:UNUSED_PAD src0_sel:WORD_1 src1_sel:DWORD
	v_fma_f16 v8, v28, v8, v41
	v_fma_f16 v28, v28, v40, -v42
	v_fma_f16 v10, v29, v10, v43
	v_fma_f16 v29, v29, v39, -v44
	;; [unrolled: 2-line block ×3, first 2 shown]
	v_mul_f16_sdwa v38, v31, v37 dst_sel:DWORD dst_unused:UNUSED_PAD src0_sel:WORD_1 src1_sel:DWORD
	v_mul_f16_sdwa v39, v31, v9 dst_sel:DWORD dst_unused:UNUSED_PAD src0_sel:WORD_1 src1_sel:DWORD
	;; [unrolled: 1-line block ×6, first 2 shown]
	v_sub_f16_e32 v10, v27, v10
	v_sub_f16_e32 v29, v14, v29
	v_sub_f16_e32 v12, v8, v12
	v_sub_f16_e32 v30, v28, v30
	v_fma_f16 v9, v31, v9, v38
	v_fma_f16 v31, v31, v37, -v39
	v_fma_f16 v11, v32, v11, v40
	v_fma_f16 v32, v32, v36, -v41
	;; [unrolled: 2-line block ×3, first 2 shown]
	v_fma_f16 v27, v27, 2.0, -v10
	v_fma_f16 v14, v14, 2.0, -v29
	;; [unrolled: 1-line block ×4, first 2 shown]
	v_add_f16_e32 v30, v10, v30
	v_sub_f16_e32 v12, v29, v12
	v_sub_f16_e32 v11, v26, v11
	;; [unrolled: 1-line block ×7, first 2 shown]
	v_fma_f16 v10, v10, 2.0, -v30
	v_fma_f16 v29, v29, 2.0, -v12
	v_pack_b32_f16 v12, v30, v12
	v_fma_f16 v26, v26, 2.0, -v11
	v_fma_f16 v30, v34, 2.0, -v32
	;; [unrolled: 1-line block ×5, first 2 shown]
	v_add_f16_e32 v33, v11, v33
	v_sub_f16_e32 v13, v32, v13
	v_pack_b32_f16 v10, v10, v29
	v_pack_b32_f16 v8, v8, v28
	ds_write_b32 v16, v12 offset:4356
	v_sub_f16_e32 v9, v26, v9
	v_sub_f16_e32 v12, v30, v31
	v_fma_f16 v14, v14, 2.0, -v28
	v_fma_f16 v11, v11, 2.0, -v33
	;; [unrolled: 1-line block ×3, first 2 shown]
	ds_write_b32 v16, v10 offset:1452
	ds_write_b32 v16, v8 offset:2904
	v_fma_f16 v8, v26, 2.0, -v9
	v_fma_f16 v10, v30, 2.0, -v12
	v_pack_b32_f16 v14, v27, v14
	v_pack_b32_f16 v11, v11, v28
	;; [unrolled: 1-line block ×3, first 2 shown]
	ds_write_b32 v16, v14
	v_pack_b32_f16 v9, v9, v12
	ds_write_b32 v19, v11 offset:1452
	ds_write_b32 v19, v8
	ds_write_b32 v19, v9 offset:2904
	v_pack_b32_f16 v8, v33, v13
	ds_write_b32 v19, v8 offset:4356
	s_and_saveexec_b64 s[2:3], vcc
	s_cbranch_execz .LBB0_21
; %bb.20:
	v_add_u32_e32 v8, 0xffffff9d, v0
	v_cndmask_b32_e32 v8, v8, v7, vcc
	v_mul_i32_i24_e32 v14, 3, v8
	v_lshlrev_b64 v[8:9], 2, v[14:15]
	v_mov_b32_e32 v10, s9
	v_add_co_u32_e32 v8, vcc, s8, v8
	v_addc_co_u32_e32 v9, vcc, v10, v9, vcc
	global_load_dwordx3 v[8:10], v[8:9], off offset:1408
	s_waitcnt vmcnt(0)
	v_mul_f16_sdwa v11, v22, v9 dst_sel:DWORD dst_unused:UNUSED_PAD src0_sel:DWORD src1_sel:WORD_1
	v_mul_f16_sdwa v12, v23, v8 dst_sel:DWORD dst_unused:UNUSED_PAD src0_sel:DWORD src1_sel:WORD_1
	;; [unrolled: 1-line block ×6, first 2 shown]
	v_fma_f16 v11, v20, v9, v11
	v_fma_f16 v12, v25, v8, -v12
	v_fma_f16 v5, v5, v10, -v13
	;; [unrolled: 1-line block ×3, first 2 shown]
	v_fma_f16 v8, v23, v8, v15
	v_fma_f16 v1, v1, v10, v26
	v_sub_f16_e32 v10, v21, v11
	v_sub_f16_e32 v5, v12, v5
	v_sub_f16_e32 v9, v24, v9
	v_sub_f16_e32 v1, v8, v1
	v_add_f16_e32 v11, v10, v5
	v_sub_f16_e32 v13, v9, v1
	v_fma_f16 v14, v21, 2.0, -v10
	v_fma_f16 v1, v8, 2.0, -v1
	;; [unrolled: 1-line block ×6, first 2 shown]
	v_sub_f16_e32 v1, v14, v1
	v_sub_f16_e32 v5, v8, v5
	v_fma_f16 v12, v14, 2.0, -v1
	v_fma_f16 v8, v8, 2.0, -v5
	v_pack_b32_f16 v9, v10, v9
	v_pack_b32_f16 v11, v11, v13
	;; [unrolled: 1-line block ×4, first 2 shown]
	ds_write_b32 v16, v9 offset:2508
	ds_write_b32 v16, v1 offset:3960
	;; [unrolled: 1-line block ×4, first 2 shown]
.LBB0_21:
	s_or_b64 exec, exec, s[2:3]
	s_waitcnt lgkmcnt(0)
	s_barrier
	ds_read_b32 v5, v16
	s_add_u32 s4, s8, 0x1684
	v_lshlrev_b32_e32 v1, 2, v0
	s_addc_u32 s5, s9, 0
	v_sub_u32_e32 v11, 0, v1
	v_cmp_ne_u32_e32 vcc, 0, v0
                                        ; implicit-def: $vgpr13
                                        ; implicit-def: $vgpr12
                                        ; implicit-def: $vgpr14
                                        ; implicit-def: $vgpr9_vgpr10
	s_and_saveexec_b64 s[2:3], vcc
	s_xor_b64 s[2:3], exec, s[2:3]
	s_cbranch_execz .LBB0_23
; %bb.22:
	v_mov_b32_e32 v1, 0
	v_lshlrev_b64 v[8:9], 2, v[0:1]
	v_mov_b32_e32 v10, s5
	v_add_co_u32_e32 v8, vcc, s4, v8
	v_addc_co_u32_e32 v9, vcc, v10, v9, vcc
	global_load_dword v8, v[8:9], off
	ds_read_b32 v9, v11 offset:5808
	s_waitcnt lgkmcnt(0)
	v_add_f16_sdwa v12, v9, v5 dst_sel:DWORD dst_unused:UNUSED_PAD src0_sel:WORD_1 src1_sel:WORD_1
	v_sub_f16_e32 v13, v5, v9
	v_add_f16_e32 v10, v9, v5
	v_sub_f16_sdwa v5, v5, v9 dst_sel:DWORD dst_unused:UNUSED_PAD src0_sel:WORD_1 src1_sel:WORD_1
	v_mul_f16_e32 v9, 0.5, v12
	v_mul_f16_e32 v12, 0.5, v13
	;; [unrolled: 1-line block ×3, first 2 shown]
	s_waitcnt vmcnt(0)
	v_lshrrev_b32_e32 v13, 16, v8
	v_mul_f16_e32 v15, v13, v12
	v_fma_f16 v14, v9, v13, v5
	v_fma_f16 v5, v9, v13, -v5
	v_fma_f16 v20, v10, 0.5, v15
	v_fma_f16 v10, v10, 0.5, -v15
	v_fma_f16 v14, -v8, v12, v14
	v_fma_f16 v13, -v8, v12, v5
	v_fma_f16 v5, v8, v9, v20
	v_fma_f16 v12, -v8, v9, v10
	v_mov_b32_e32 v10, v1
	ds_write_b16 v16, v5
	v_mov_b32_e32 v9, v0
                                        ; implicit-def: $vgpr5
.LBB0_23:
	s_andn2_saveexec_b64 s[2:3], s[2:3]
	s_cbranch_execz .LBB0_25
; %bb.24:
	v_mov_b32_e32 v14, 0
	ds_read_u16 v1, v14 offset:2906
	v_mov_b32_e32 v9, 0
	s_waitcnt lgkmcnt(1)
	v_add_f16_sdwa v8, v5, v5 dst_sel:DWORD dst_unused:UNUSED_PAD src0_sel:WORD_1 src1_sel:DWORD
	v_sub_f16_sdwa v12, v5, v5 dst_sel:DWORD dst_unused:UNUSED_PAD src0_sel:DWORD src1_sel:WORD_1
	v_mov_b32_e32 v10, 0
	s_waitcnt lgkmcnt(0)
	v_xor_b32_e32 v1, 0x8000, v1
	v_mov_b32_e32 v13, 0
	ds_write_b16 v16, v8
	ds_write_b16 v14, v1 offset:2906
.LBB0_25:
	s_or_b64 exec, exec, s[2:3]
	s_waitcnt lgkmcnt(0)
	v_mov_b32_e32 v5, 0
	v_lshlrev_b64 v[20:21], 2, v[4:5]
	v_mov_b32_e32 v1, s5
	v_add_co_u32_e32 v20, vcc, s4, v20
	v_addc_co_u32_e32 v21, vcc, v1, v21, vcc
	global_load_dword v1, v[20:21], off
	v_mov_b32_e32 v8, v5
	v_lshlrev_b64 v[7:8], 2, v[7:8]
	v_mov_b32_e32 v4, s5
	v_add_co_u32_e32 v7, vcc, s4, v7
	v_addc_co_u32_e32 v8, vcc, v4, v8, vcc
	global_load_dword v8, v[7:8], off
	;; [unrolled: 6-line block ×3, first 2 shown]
	s_mov_b32 s2, 0x5040100
	v_lshlrev_b64 v[4:5], 2, v[9:10]
	v_perm_b32 v6, v13, v12, s2
	ds_write_b16 v16, v14 offset:2
	v_mov_b32_e32 v7, s5
	ds_write_b32 v11, v6 offset:5808
	v_add_co_u32_e32 v6, vcc, s4, v4
	v_addc_co_u32_e32 v7, vcc, v7, v5, vcc
	ds_read_b32 v9, v19
	ds_read_b32 v10, v11 offset:5280
	global_load_dword v12, v[6:7], off offset:2112
	s_mov_b32 s4, 0xffff
	s_movk_i32 s2, 0x42
	v_cmp_gt_u32_e32 vcc, s2, v0
	s_waitcnt lgkmcnt(0)
	v_pk_add_f16 v13, v9, v10 neg_lo:[0,1] neg_hi:[0,1]
	v_pk_add_f16 v9, v9, v10
	v_bfi_b32 v10, s4, v13, v9
	v_bfi_b32 v9, s4, v9, v13
	v_pk_mul_f16 v10, v10, 0.5 op_sel_hi:[1,0]
	v_pk_mul_f16 v9, v9, 0.5 op_sel_hi:[1,0]
	s_waitcnt vmcnt(3)
	v_pk_fma_f16 v13, v1, v10, v9 op_sel:[1,0,0]
	v_pk_mul_f16 v14, v1, v10 op_sel_hi:[0,1]
	v_pk_fma_f16 v20, v1, v10, v9 op_sel:[1,0,0] neg_lo:[1,0,0] neg_hi:[1,0,0]
	v_pk_fma_f16 v1, v1, v10, v9 op_sel:[1,0,0] neg_lo:[0,0,1] neg_hi:[0,0,1]
	v_pk_add_f16 v9, v13, v14 op_sel:[0,1] op_sel_hi:[1,0]
	v_pk_add_f16 v10, v13, v14 op_sel:[0,1] op_sel_hi:[1,0] neg_lo:[0,1] neg_hi:[0,1]
	v_pk_add_f16 v13, v20, v14 op_sel:[0,1] op_sel_hi:[1,0] neg_lo:[0,1] neg_hi:[0,1]
	v_pk_add_f16 v1, v1, v14 op_sel:[0,1] op_sel_hi:[1,0] neg_lo:[0,1] neg_hi:[0,1]
	v_bfi_b32 v9, s4, v9, v10
	v_bfi_b32 v1, s4, v13, v1
	ds_write_b32 v19, v9
	ds_write_b32 v11, v1 offset:5280
	ds_read_b32 v1, v18
	ds_read_b32 v9, v11 offset:4752
	s_waitcnt lgkmcnt(0)
	v_pk_add_f16 v10, v1, v9 neg_lo:[0,1] neg_hi:[0,1]
	v_pk_add_f16 v1, v1, v9
	v_bfi_b32 v9, s4, v10, v1
	v_bfi_b32 v1, s4, v1, v10
	v_pk_mul_f16 v9, v9, 0.5 op_sel_hi:[1,0]
	v_pk_mul_f16 v1, v1, 0.5 op_sel_hi:[1,0]
	s_waitcnt vmcnt(2)
	v_pk_fma_f16 v10, v8, v9, v1 op_sel:[1,0,0]
	v_pk_mul_f16 v13, v8, v9 op_sel_hi:[0,1]
	v_pk_fma_f16 v14, v8, v9, v1 op_sel:[1,0,0] neg_lo:[1,0,0] neg_hi:[1,0,0]
	v_pk_fma_f16 v1, v8, v9, v1 op_sel:[1,0,0] neg_lo:[0,0,1] neg_hi:[0,0,1]
	v_pk_add_f16 v8, v10, v13 op_sel:[0,1] op_sel_hi:[1,0]
	v_pk_add_f16 v9, v10, v13 op_sel:[0,1] op_sel_hi:[1,0] neg_lo:[0,1] neg_hi:[0,1]
	v_pk_add_f16 v10, v14, v13 op_sel:[0,1] op_sel_hi:[1,0] neg_lo:[0,1] neg_hi:[0,1]
	;; [unrolled: 1-line block ×3, first 2 shown]
	v_bfi_b32 v8, s4, v8, v9
	v_bfi_b32 v1, s4, v10, v1
	ds_write_b32 v18, v8
	ds_write_b32 v11, v1 offset:4752
	ds_read_b32 v1, v17
	ds_read_b32 v8, v11 offset:4224
	s_waitcnt lgkmcnt(0)
	v_pk_add_f16 v9, v1, v8 neg_lo:[0,1] neg_hi:[0,1]
	v_pk_add_f16 v1, v1, v8
	v_bfi_b32 v8, s4, v9, v1
	v_bfi_b32 v1, s4, v1, v9
	v_pk_mul_f16 v8, v8, 0.5 op_sel_hi:[1,0]
	v_pk_mul_f16 v1, v1, 0.5 op_sel_hi:[1,0]
	s_waitcnt vmcnt(1)
	v_pk_fma_f16 v9, v15, v8, v1 op_sel:[1,0,0]
	v_pk_mul_f16 v10, v15, v8 op_sel_hi:[0,1]
	v_pk_fma_f16 v13, v15, v8, v1 op_sel:[1,0,0] neg_lo:[1,0,0] neg_hi:[1,0,0]
	v_pk_fma_f16 v1, v15, v8, v1 op_sel:[1,0,0] neg_lo:[0,0,1] neg_hi:[0,0,1]
	v_pk_add_f16 v8, v9, v10 op_sel:[0,1] op_sel_hi:[1,0]
	v_pk_add_f16 v9, v9, v10 op_sel:[0,1] op_sel_hi:[1,0] neg_lo:[0,1] neg_hi:[0,1]
	v_pk_add_f16 v13, v13, v10 op_sel:[0,1] op_sel_hi:[1,0] neg_lo:[0,1] neg_hi:[0,1]
	;; [unrolled: 1-line block ×3, first 2 shown]
	v_bfi_b32 v8, s4, v8, v9
	v_bfi_b32 v1, s4, v13, v1
	ds_write_b32 v17, v8
	ds_write_b32 v11, v1 offset:4224
	ds_read_b32 v1, v16 offset:2112
	ds_read_b32 v8, v11 offset:3696
	s_waitcnt lgkmcnt(0)
	v_pk_add_f16 v9, v1, v8 neg_lo:[0,1] neg_hi:[0,1]
	v_pk_add_f16 v1, v1, v8
	v_bfi_b32 v8, s4, v9, v1
	v_bfi_b32 v1, s4, v1, v9
	v_pk_mul_f16 v8, v8, 0.5 op_sel_hi:[1,0]
	v_pk_mul_f16 v1, v1, 0.5 op_sel_hi:[1,0]
	s_waitcnt vmcnt(0)
	v_pk_fma_f16 v9, v12, v8, v1 op_sel:[1,0,0]
	v_pk_mul_f16 v10, v12, v8 op_sel_hi:[0,1]
	v_pk_fma_f16 v13, v12, v8, v1 op_sel:[1,0,0] neg_lo:[1,0,0] neg_hi:[1,0,0]
	v_pk_fma_f16 v1, v12, v8, v1 op_sel:[1,0,0] neg_lo:[0,0,1] neg_hi:[0,0,1]
	v_pk_add_f16 v8, v9, v10 op_sel:[0,1] op_sel_hi:[1,0]
	v_pk_add_f16 v9, v9, v10 op_sel:[0,1] op_sel_hi:[1,0] neg_lo:[0,1] neg_hi:[0,1]
	v_pk_add_f16 v12, v13, v10 op_sel:[0,1] op_sel_hi:[1,0] neg_lo:[0,1] neg_hi:[0,1]
	;; [unrolled: 1-line block ×3, first 2 shown]
	v_bfi_b32 v8, s4, v8, v9
	v_bfi_b32 v1, s4, v12, v1
	ds_write_b32 v16, v8 offset:2112
	ds_write_b32 v11, v1 offset:3696
	s_and_saveexec_b64 s[2:3], vcc
	s_cbranch_execz .LBB0_27
; %bb.26:
	global_load_dword v1, v[6:7], off offset:2640
	ds_read_b32 v6, v16 offset:2640
	ds_read_b32 v7, v11 offset:3168
	s_waitcnt lgkmcnt(0)
	v_pk_add_f16 v8, v6, v7 neg_lo:[0,1] neg_hi:[0,1]
	v_pk_add_f16 v6, v6, v7
	v_bfi_b32 v7, s4, v8, v6
	v_bfi_b32 v6, s4, v6, v8
	v_pk_mul_f16 v7, v7, 0.5 op_sel_hi:[1,0]
	v_pk_mul_f16 v6, v6, 0.5 op_sel_hi:[1,0]
	s_waitcnt vmcnt(0)
	v_pk_fma_f16 v8, v1, v7, v6 op_sel:[1,0,0]
	v_pk_mul_f16 v9, v1, v7 op_sel_hi:[0,1]
	v_pk_fma_f16 v10, v1, v7, v6 op_sel:[1,0,0] neg_lo:[1,0,0] neg_hi:[1,0,0]
	v_pk_fma_f16 v1, v1, v7, v6 op_sel:[1,0,0] neg_lo:[0,0,1] neg_hi:[0,0,1]
	v_pk_add_f16 v6, v8, v9 op_sel:[0,1] op_sel_hi:[1,0]
	v_pk_add_f16 v7, v8, v9 op_sel:[0,1] op_sel_hi:[1,0] neg_lo:[0,1] neg_hi:[0,1]
	v_pk_add_f16 v8, v10, v9 op_sel:[0,1] op_sel_hi:[1,0] neg_lo:[0,1] neg_hi:[0,1]
	;; [unrolled: 1-line block ×3, first 2 shown]
	v_bfi_b32 v6, s4, v6, v7
	v_bfi_b32 v1, s4, v8, v1
	ds_write_b32 v16, v6 offset:2640
	ds_write_b32 v11, v1 offset:3168
.LBB0_27:
	s_or_b64 exec, exec, s[2:3]
	s_waitcnt lgkmcnt(0)
	s_barrier
	s_and_saveexec_b64 s[2:3], s[0:1]
	s_cbranch_execz .LBB0_30
; %bb.28:
	ds_read2_b32 v[6:7], v16 offset1:132
	v_mov_b32_e32 v1, s13
	v_add_co_u32_e32 v2, vcc, s12, v2
	v_addc_co_u32_e32 v1, vcc, v1, v3, vcc
	v_add_co_u32_e32 v3, vcc, v2, v4
	v_addc_co_u32_e32 v4, vcc, v1, v5, vcc
	s_waitcnt lgkmcnt(0)
	global_store_dword v[3:4], v6, off
	global_store_dword v[3:4], v7, off offset:528
	v_add_u32_e32 v5, 0x400, v16
	ds_read2_b32 v[5:6], v5 offset0:8 offset1:140
	v_add_u32_e32 v7, 0x800, v16
	ds_read2_b32 v[7:8], v7 offset0:16 offset1:148
	;; [unrolled: 2-line block ×3, first 2 shown]
	s_waitcnt lgkmcnt(2)
	global_store_dword v[3:4], v5, off offset:1056
	global_store_dword v[3:4], v6, off offset:1584
	s_waitcnt lgkmcnt(1)
	global_store_dword v[3:4], v7, off offset:2112
	global_store_dword v[3:4], v8, off offset:2640
	;; [unrolled: 3-line block ×3, first 2 shown]
	v_add_u32_e32 v5, 0x1000, v16
	ds_read2_b32 v[5:6], v5 offset0:32 offset1:164
	v_add_co_u32_e32 v3, vcc, 0x1000, v3
	ds_read_b32 v7, v16 offset:5280
	v_addc_co_u32_e32 v4, vcc, 0, v4, vcc
	s_movk_i32 s0, 0x83
	v_cmp_eq_u32_e32 vcc, s0, v0
	s_waitcnt lgkmcnt(1)
	global_store_dword v[3:4], v5, off offset:128
	global_store_dword v[3:4], v6, off offset:656
	s_waitcnt lgkmcnt(0)
	global_store_dword v[3:4], v7, off offset:1184
	s_and_b64 exec, exec, vcc
	s_cbranch_execz .LBB0_30
; %bb.29:
	v_mov_b32_e32 v0, 0
	ds_read_b32 v3, v0 offset:5808
	v_add_co_u32_e32 v0, vcc, 0x1000, v2
	v_addc_co_u32_e32 v1, vcc, 0, v1, vcc
	s_waitcnt lgkmcnt(0)
	global_store_dword v[0:1], v3, off offset:1712
.LBB0_30:
	s_endpgm
	.section	.rodata,"a",@progbits
	.p2align	6, 0x0
	.amdhsa_kernel fft_rtc_back_len1452_factors_11_3_11_4_wgs_132_tpt_132_halfLds_half_ip_CI_unitstride_sbrr_R2C_dirReg
		.amdhsa_group_segment_fixed_size 0
		.amdhsa_private_segment_fixed_size 0
		.amdhsa_kernarg_size 88
		.amdhsa_user_sgpr_count 6
		.amdhsa_user_sgpr_private_segment_buffer 1
		.amdhsa_user_sgpr_dispatch_ptr 0
		.amdhsa_user_sgpr_queue_ptr 0
		.amdhsa_user_sgpr_kernarg_segment_ptr 1
		.amdhsa_user_sgpr_dispatch_id 0
		.amdhsa_user_sgpr_flat_scratch_init 0
		.amdhsa_user_sgpr_private_segment_size 0
		.amdhsa_uses_dynamic_stack 0
		.amdhsa_system_sgpr_private_segment_wavefront_offset 0
		.amdhsa_system_sgpr_workgroup_id_x 1
		.amdhsa_system_sgpr_workgroup_id_y 0
		.amdhsa_system_sgpr_workgroup_id_z 0
		.amdhsa_system_sgpr_workgroup_info 0
		.amdhsa_system_vgpr_workitem_id 0
		.amdhsa_next_free_vgpr 62
		.amdhsa_next_free_sgpr 22
		.amdhsa_reserve_vcc 1
		.amdhsa_reserve_flat_scratch 0
		.amdhsa_float_round_mode_32 0
		.amdhsa_float_round_mode_16_64 0
		.amdhsa_float_denorm_mode_32 3
		.amdhsa_float_denorm_mode_16_64 3
		.amdhsa_dx10_clamp 1
		.amdhsa_ieee_mode 1
		.amdhsa_fp16_overflow 0
		.amdhsa_exception_fp_ieee_invalid_op 0
		.amdhsa_exception_fp_denorm_src 0
		.amdhsa_exception_fp_ieee_div_zero 0
		.amdhsa_exception_fp_ieee_overflow 0
		.amdhsa_exception_fp_ieee_underflow 0
		.amdhsa_exception_fp_ieee_inexact 0
		.amdhsa_exception_int_div_zero 0
	.end_amdhsa_kernel
	.text
.Lfunc_end0:
	.size	fft_rtc_back_len1452_factors_11_3_11_4_wgs_132_tpt_132_halfLds_half_ip_CI_unitstride_sbrr_R2C_dirReg, .Lfunc_end0-fft_rtc_back_len1452_factors_11_3_11_4_wgs_132_tpt_132_halfLds_half_ip_CI_unitstride_sbrr_R2C_dirReg
                                        ; -- End function
	.section	.AMDGPU.csdata,"",@progbits
; Kernel info:
; codeLenInByte = 10088
; NumSgprs: 26
; NumVgprs: 62
; ScratchSize: 0
; MemoryBound: 0
; FloatMode: 240
; IeeeMode: 1
; LDSByteSize: 0 bytes/workgroup (compile time only)
; SGPRBlocks: 3
; VGPRBlocks: 15
; NumSGPRsForWavesPerEU: 26
; NumVGPRsForWavesPerEU: 62
; Occupancy: 4
; WaveLimiterHint : 1
; COMPUTE_PGM_RSRC2:SCRATCH_EN: 0
; COMPUTE_PGM_RSRC2:USER_SGPR: 6
; COMPUTE_PGM_RSRC2:TRAP_HANDLER: 0
; COMPUTE_PGM_RSRC2:TGID_X_EN: 1
; COMPUTE_PGM_RSRC2:TGID_Y_EN: 0
; COMPUTE_PGM_RSRC2:TGID_Z_EN: 0
; COMPUTE_PGM_RSRC2:TIDIG_COMP_CNT: 0
	.type	__hip_cuid_f9122b3257ca58d3,@object ; @__hip_cuid_f9122b3257ca58d3
	.section	.bss,"aw",@nobits
	.globl	__hip_cuid_f9122b3257ca58d3
__hip_cuid_f9122b3257ca58d3:
	.byte	0                               ; 0x0
	.size	__hip_cuid_f9122b3257ca58d3, 1

	.ident	"AMD clang version 19.0.0git (https://github.com/RadeonOpenCompute/llvm-project roc-6.4.0 25133 c7fe45cf4b819c5991fe208aaa96edf142730f1d)"
	.section	".note.GNU-stack","",@progbits
	.addrsig
	.addrsig_sym __hip_cuid_f9122b3257ca58d3
	.amdgpu_metadata
---
amdhsa.kernels:
  - .args:
      - .actual_access:  read_only
        .address_space:  global
        .offset:         0
        .size:           8
        .value_kind:     global_buffer
      - .offset:         8
        .size:           8
        .value_kind:     by_value
      - .actual_access:  read_only
        .address_space:  global
        .offset:         16
        .size:           8
        .value_kind:     global_buffer
      - .actual_access:  read_only
        .address_space:  global
        .offset:         24
        .size:           8
        .value_kind:     global_buffer
      - .offset:         32
        .size:           8
        .value_kind:     by_value
      - .actual_access:  read_only
        .address_space:  global
        .offset:         40
        .size:           8
        .value_kind:     global_buffer
      - .actual_access:  read_only
        .address_space:  global
        .offset:         48
        .size:           8
        .value_kind:     global_buffer
      - .offset:         56
        .size:           4
        .value_kind:     by_value
      - .actual_access:  read_only
        .address_space:  global
        .offset:         64
        .size:           8
        .value_kind:     global_buffer
      - .actual_access:  read_only
        .address_space:  global
        .offset:         72
        .size:           8
        .value_kind:     global_buffer
      - .address_space:  global
        .offset:         80
        .size:           8
        .value_kind:     global_buffer
    .group_segment_fixed_size: 0
    .kernarg_segment_align: 8
    .kernarg_segment_size: 88
    .language:       OpenCL C
    .language_version:
      - 2
      - 0
    .max_flat_workgroup_size: 132
    .name:           fft_rtc_back_len1452_factors_11_3_11_4_wgs_132_tpt_132_halfLds_half_ip_CI_unitstride_sbrr_R2C_dirReg
    .private_segment_fixed_size: 0
    .sgpr_count:     26
    .sgpr_spill_count: 0
    .symbol:         fft_rtc_back_len1452_factors_11_3_11_4_wgs_132_tpt_132_halfLds_half_ip_CI_unitstride_sbrr_R2C_dirReg.kd
    .uniform_work_group_size: 1
    .uses_dynamic_stack: false
    .vgpr_count:     62
    .vgpr_spill_count: 0
    .wavefront_size: 64
amdhsa.target:   amdgcn-amd-amdhsa--gfx906
amdhsa.version:
  - 1
  - 2
...

	.end_amdgpu_metadata
